;; amdgpu-corpus repo=ROCm/rocFFT kind=compiled arch=gfx1030 opt=O3
	.text
	.amdgcn_target "amdgcn-amd-amdhsa--gfx1030"
	.amdhsa_code_object_version 6
	.protected	bluestein_single_fwd_len300_dim1_dp_op_CI_CI ; -- Begin function bluestein_single_fwd_len300_dim1_dp_op_CI_CI
	.globl	bluestein_single_fwd_len300_dim1_dp_op_CI_CI
	.p2align	8
	.type	bluestein_single_fwd_len300_dim1_dp_op_CI_CI,@function
bluestein_single_fwd_len300_dim1_dp_op_CI_CI: ; @bluestein_single_fwd_len300_dim1_dp_op_CI_CI
; %bb.0:
	s_load_dwordx4 s[12:15], s[4:5], 0x28
	v_mul_u32_u24_e32 v1, 0x889, v0
	v_mov_b32_e32 v157, 0
	s_mov_b32 s0, exec_lo
	v_lshrrev_b32_e32 v40, 16, v1
	v_lshl_add_u32 v156, s6, 1, v40
	s_waitcnt lgkmcnt(0)
	v_cmpx_gt_u64_e64 s[12:13], v[156:157]
	s_cbranch_execz .LBB0_10
; %bb.1:
	s_clause 0x1
	s_load_dwordx4 s[8:11], s[4:5], 0x18
	s_load_dwordx4 s[0:3], s[4:5], 0x0
	v_mul_lo_u16 v1, v40, 30
	v_and_b32_e32 v40, 1, v40
	s_mov_b32 s13, 0xbfee6f0e
	s_load_dwordx2 s[4:5], s[4:5], 0x38
	v_sub_nc_u16 v76, v0, v1
	v_and_b32_e32 v159, 0xffff, v76
	v_lshlrev_b32_e32 v123, 4, v159
	s_waitcnt lgkmcnt(0)
	s_load_dwordx4 s[16:19], s[8:9], 0x0
	v_add_co_u32 v161, s6, s0, v123
	v_add_co_ci_u32_e64 v162, null, s1, 0, s6
	v_add_co_u32 v28, vcc_lo, 0x800, v161
	v_add_co_ci_u32_e32 v29, vcc_lo, 0, v162, vcc_lo
	s_waitcnt lgkmcnt(0)
	v_mad_u64_u32 v[20:21], null, s18, v156, 0
	v_mad_u64_u32 v[22:23], null, s16, v159, 0
	s_mul_i32 s6, s16, 0x1e0
	v_mov_b32_e32 v0, v21
	v_mov_b32_e32 v1, v23
	v_mad_u64_u32 v[8:9], null, s19, v156, v[0:1]
	v_mad_u64_u32 v[23:24], null, s17, v159, v[1:2]
	s_clause 0x1
	global_load_dwordx4 v[0:3], v123, s[0:1]
	global_load_dwordx4 v[4:7], v123, s[0:1] offset:480
	s_mov_b32 s18, 0x9b97f4a8
	s_mov_b32 s19, 0x3fe9e377
	v_mov_b32_e32 v21, v8
	s_clause 0x2
	global_load_dwordx4 v[8:11], v123, s[0:1] offset:960
	global_load_dwordx4 v[12:15], v123, s[0:1] offset:1440
	;; [unrolled: 1-line block ×3, first 2 shown]
	v_lshlrev_b64 v[22:23], 4, v[22:23]
	s_mul_i32 s0, s17, 0x1e0
	s_mul_hi_u32 s1, s16, 0x1e0
	v_lshlrev_b64 v[20:21], 4, v[20:21]
	s_add_i32 s1, s1, s0
	s_mov_b32 s17, 0xbfe2cf23
	v_add_co_u32 v20, vcc_lo, s14, v20
	v_add_co_ci_u32_e32 v21, vcc_lo, s15, v21, vcc_lo
	s_mov_b32 s14, 0x372fe950
	v_add_co_u32 v30, vcc_lo, v20, v22
	v_add_co_ci_u32_e32 v31, vcc_lo, v21, v23, vcc_lo
	s_clause 0x1
	global_load_dwordx4 v[24:27], v[28:29], off offset:352
	global_load_dwordx4 v[20:23], v[28:29], off offset:832
	v_add_co_u32 v32, vcc_lo, v30, s6
	v_add_co_ci_u32_e32 v33, vcc_lo, s1, v31, vcc_lo
	v_add_co_u32 v157, vcc_lo, 0x1000, v161
	v_add_co_ci_u32_e32 v158, vcc_lo, 0, v162, vcc_lo
	;; [unrolled: 2-line block ×3, first 2 shown]
	s_clause 0x1
	global_load_dwordx4 v[41:44], v[30:31], off
	global_load_dwordx4 v[45:48], v[32:33], off
	v_add_co_u32 v36, vcc_lo, v34, s6
	v_add_co_ci_u32_e32 v37, vcc_lo, s1, v35, vcc_lo
	s_clause 0x1
	global_load_dwordx4 v[49:52], v[34:35], off
	global_load_dwordx4 v[53:56], v[36:37], off
	v_add_co_u32 v30, vcc_lo, v36, s6
	v_add_co_ci_u32_e32 v31, vcc_lo, s1, v37, vcc_lo
	s_mov_b32 s15, 0x3fd3c6ef
	v_add_co_u32 v32, vcc_lo, v30, s6
	v_add_co_ci_u32_e32 v33, vcc_lo, s1, v31, vcc_lo
	global_load_dwordx4 v[57:60], v[30:31], off
	v_add_co_u32 v30, vcc_lo, v32, s6
	v_add_co_ci_u32_e32 v31, vcc_lo, s1, v33, vcc_lo
	global_load_dwordx4 v[61:64], v[32:33], off
	v_add_co_u32 v32, vcc_lo, v30, s6
	v_add_co_ci_u32_e32 v33, vcc_lo, s1, v31, vcc_lo
	global_load_dwordx4 v[65:68], v[30:31], off
	v_add_co_u32 v36, vcc_lo, v32, s6
	v_add_co_ci_u32_e32 v37, vcc_lo, s1, v33, vcc_lo
	global_load_dwordx4 v[69:72], v[32:33], off
	v_add_co_u32 v73, vcc_lo, v36, s6
	v_add_co_ci_u32_e32 v74, vcc_lo, s1, v37, vcc_lo
	s_clause 0x1
	global_load_dwordx4 v[32:35], v[28:29], off offset:1312
	global_load_dwordx4 v[28:31], v[28:29], off offset:1792
	global_load_dwordx4 v[77:80], v[36:37], off
	global_load_dwordx4 v[36:39], v[157:158], off offset:224
	global_load_dwordx4 v[81:84], v[73:74], off
	v_cmp_eq_u32_e32 vcc_lo, 1, v40
	s_load_dwordx4 s[8:11], s[10:11], 0x0
	s_mov_b32 s0, 0x134454ff
	s_mov_b32 s1, 0x3fee6f0e
	;; [unrolled: 1-line block ×3, first 2 shown]
	v_cndmask_b32_e64 v124, 0, 0x12c, vcc_lo
	s_mov_b32 s6, 0x4755a5e
	s_mov_b32 s7, 0x3fe2cf23
	;; [unrolled: 1-line block ×3, first 2 shown]
	v_cmp_gt_u16_e32 vcc_lo, 10, v76
	v_lshlrev_b32_e32 v165, 4, v124
	v_add_nc_u32_e32 v160, v165, v123
	s_waitcnt vmcnt(12)
	v_mul_f64 v[73:74], v[43:44], v[2:3]
	v_mul_f64 v[85:86], v[41:42], v[2:3]
	s_waitcnt vmcnt(11)
	v_mul_f64 v[87:88], v[47:48], v[6:7]
	v_mul_f64 v[89:90], v[45:46], v[6:7]
	;; [unrolled: 3-line block ×5, first 2 shown]
	v_fma_f64 v[40:41], v[41:42], v[0:1], v[73:74]
	s_waitcnt vmcnt(7)
	v_mul_f64 v[103:104], v[63:64], v[26:27]
	v_mul_f64 v[105:106], v[61:62], v[26:27]
	v_fma_f64 v[42:43], v[43:44], v[0:1], -v[85:86]
	v_fma_f64 v[44:45], v[45:46], v[4:5], v[87:88]
	v_fma_f64 v[46:47], v[47:48], v[4:5], -v[89:90]
	s_waitcnt vmcnt(6)
	v_mul_f64 v[107:108], v[67:68], v[22:23]
	v_mul_f64 v[109:110], v[65:66], v[22:23]
	v_fma_f64 v[48:49], v[49:50], v[8:9], v[91:92]
	v_fma_f64 v[50:51], v[51:52], v[8:9], -v[93:94]
	v_fma_f64 v[52:53], v[53:54], v[12:13], v[95:96]
	v_fma_f64 v[54:55], v[55:56], v[12:13], -v[97:98]
	s_waitcnt vmcnt(4)
	v_mul_f64 v[111:112], v[71:72], v[34:35]
	v_mul_f64 v[113:114], v[69:70], v[34:35]
	s_waitcnt vmcnt(2)
	v_mul_f64 v[115:116], v[79:80], v[30:31]
	v_mul_f64 v[117:118], v[77:78], v[30:31]
	;; [unrolled: 3-line block ×3, first 2 shown]
	v_fma_f64 v[56:57], v[57:58], v[16:17], v[99:100]
	v_fma_f64 v[58:59], v[59:60], v[16:17], -v[101:102]
	v_and_b32_e32 v89, 0xff, v76
	v_fma_f64 v[60:61], v[61:62], v[24:25], v[103:104]
	v_fma_f64 v[62:63], v[63:64], v[24:25], -v[105:106]
	v_mul_lo_u16 v149, 0xcd, v89
	v_fma_f64 v[64:65], v[65:66], v[20:21], v[107:108]
	v_fma_f64 v[66:67], v[67:68], v[20:21], -v[109:110]
	v_fma_f64 v[68:69], v[69:70], v[32:33], v[111:112]
	v_fma_f64 v[70:71], v[71:72], v[32:33], -v[113:114]
	;; [unrolled: 2-line block ×4, first 2 shown]
	ds_write_b128 v160, v[40:43]
	ds_write_b128 v160, v[44:47] offset:480
	ds_write_b128 v160, v[48:51] offset:960
	;; [unrolled: 1-line block ×9, first 2 shown]
	s_waitcnt lgkmcnt(0)
	s_barrier
	buffer_gl0_inv
	ds_read_b128 v[48:51], v160 offset:2400
	ds_read_b128 v[44:47], v160 offset:3360
	;; [unrolled: 1-line block ×6, first 2 shown]
	ds_read_b128 v[64:67], v160
	ds_read_b128 v[68:71], v160 offset:2880
	ds_read_b128 v[72:75], v160 offset:3840
	;; [unrolled: 1-line block ×3, first 2 shown]
	s_waitcnt lgkmcnt(0)
	s_barrier
	buffer_gl0_inv
	v_add_f64 v[81:82], v[48:49], v[44:45]
	v_add_f64 v[87:88], v[50:51], v[46:47]
	;; [unrolled: 1-line block ×4, first 2 shown]
	v_add_f64 v[99:100], v[54:55], -v[42:43]
	v_add_f64 v[103:104], v[48:49], -v[44:45]
	;; [unrolled: 1-line block ×4, first 2 shown]
	v_add_f64 v[91:92], v[60:61], v[68:69]
	v_add_f64 v[95:96], v[56:57], -v[60:61]
	v_add_f64 v[97:98], v[72:73], -v[68:69]
	v_add_f64 v[105:106], v[56:57], v[72:73]
	v_add_f64 v[113:114], v[62:63], v[70:71]
	;; [unrolled: 1-line block ×3, first 2 shown]
	v_add_f64 v[119:120], v[52:53], -v[48:49]
	v_add_f64 v[121:122], v[40:41], -v[44:45]
	;; [unrolled: 1-line block ×3, first 2 shown]
	v_add_f64 v[52:53], v[77:78], v[52:53]
	v_add_f64 v[127:128], v[46:47], -v[42:43]
	v_add_f64 v[125:126], v[44:45], -v[40:41]
	;; [unrolled: 1-line block ×3, first 2 shown]
	v_add_f64 v[89:90], v[64:65], v[56:57]
	v_fma_f64 v[81:82], v[81:82], -0.5, v[77:78]
	v_fma_f64 v[87:88], v[87:88], -0.5, v[79:80]
	;; [unrolled: 1-line block ×4, first 2 shown]
	v_add_f64 v[77:78], v[79:80], v[54:55]
	v_add_f64 v[79:80], v[50:51], -v[54:55]
	v_add_f64 v[54:55], v[54:55], -v[50:51]
	v_add_f64 v[109:110], v[66:67], v[58:59]
	v_add_f64 v[93:94], v[58:59], -v[74:75]
	v_add_f64 v[107:108], v[60:61], -v[56:57]
	;; [unrolled: 1-line block ×6, first 2 shown]
	v_fma_f64 v[91:92], v[91:92], -0.5, v[64:65]
	v_add_f64 v[95:96], v[95:96], v[97:98]
	v_fma_f64 v[64:65], v[105:106], -0.5, v[64:65]
	v_fma_f64 v[97:98], v[113:114], -0.5, v[66:67]
	;; [unrolled: 1-line block ×3, first 2 shown]
	v_add_f64 v[105:106], v[119:120], v[121:122]
	v_add_f64 v[113:114], v[123:124], v[125:126]
	v_add_f64 v[115:116], v[58:59], -v[62:63]
	v_fma_f64 v[129:130], v[99:100], s[0:1], v[81:82]
	v_fma_f64 v[81:82], v[99:100], s[12:13], v[81:82]
	;; [unrolled: 1-line block ×7, first 2 shown]
	v_add_f64 v[79:80], v[79:80], v[127:128]
	v_fma_f64 v[87:88], v[111:112], s[12:13], v[87:88]
	v_add_f64 v[54:55], v[54:55], v[135:136]
	v_add_f64 v[58:59], v[62:63], -v[58:59]
	v_add_f64 v[60:61], v[89:90], v[60:61]
	v_add_f64 v[62:63], v[109:110], v[62:63]
	;; [unrolled: 1-line block ×4, first 2 shown]
	v_add_f64 v[145:146], v[74:75], -v[70:71]
	v_add_f64 v[89:90], v[107:108], v[139:140]
	v_fma_f64 v[52:53], v[93:94], s[0:1], v[91:92]
	v_fma_f64 v[77:78], v[93:94], s[12:13], v[91:92]
	;; [unrolled: 1-line block ×15, first 2 shown]
	v_add_f64 v[147:148], v[70:71], -v[74:75]
	v_fma_f64 v[97:98], v[56:57], s[0:1], v[97:98]
	v_add_f64 v[60:61], v[60:61], v[68:69]
	v_add_f64 v[62:63], v[62:63], v[70:71]
	;; [unrolled: 1-line block ×4, first 2 shown]
	v_fma_f64 v[48:49], v[141:142], s[6:7], v[52:53]
	v_fma_f64 v[50:51], v[141:142], s[16:17], v[77:78]
	;; [unrolled: 1-line block ×12, first 2 shown]
	v_add_f64 v[105:106], v[115:116], v[145:146]
	v_fma_f64 v[68:69], v[143:144], s[16:17], v[101:102]
	v_fma_f64 v[56:57], v[56:57], s[6:7], v[66:67]
	v_fma_f64 v[54:55], v[54:55], s[14:15], v[87:88]
	v_add_f64 v[58:59], v[58:59], v[147:148]
	v_fma_f64 v[70:71], v[143:144], s[6:7], v[97:98]
	v_add_f64 v[60:61], v[60:61], v[72:73]
	v_add_f64 v[62:63], v[62:63], v[74:75]
	;; [unrolled: 1-line block ×4, first 2 shown]
	v_fma_f64 v[72:73], v[95:96], s[14:15], v[48:49]
	v_fma_f64 v[74:75], v[95:96], s[14:15], v[50:51]
	;; [unrolled: 1-line block ×4, first 2 shown]
	v_lshrrev_b16 v77, 11, v149
	v_mul_f64 v[66:67], v[103:104], s[18:19]
	v_mul_f64 v[99:100], v[103:104], s[16:17]
	;; [unrolled: 1-line block ×8, first 2 shown]
	v_fma_f64 v[113:114], v[105:106], s[14:15], v[68:69]
	v_mul_lo_u16 v40, v77, 10
	v_fma_f64 v[105:106], v[105:106], s[14:15], v[70:71]
	v_fma_f64 v[70:71], v[58:59], s[14:15], v[91:92]
	;; [unrolled: 1-line block ×3, first 2 shown]
	v_add_f64 v[42:43], v[62:63], v[46:47]
	v_add_f64 v[46:47], v[62:63], -v[46:47]
	v_fma_f64 v[64:65], v[54:55], s[6:7], v[66:67]
	v_fma_f64 v[66:67], v[85:86], s[14:15], v[87:88]
	;; [unrolled: 1-line block ×4, first 2 shown]
	v_fma_f64 v[78:79], v[79:80], s[0:1], -v[93:94]
	v_fma_f64 v[93:94], v[111:112], s[12:13], -v[103:104]
	;; [unrolled: 1-line block ×4, first 2 shown]
	v_sub_nc_u16 v98, v76, v40
	v_add_f64 v[40:41], v[60:61], v[44:45]
	v_add_f64 v[44:45], v[60:61], -v[44:45]
	v_mul_lo_u16 v97, v76, 10
	v_add_f64 v[48:49], v[72:73], v[64:65]
	v_add_f64 v[64:65], v[72:73], -v[64:65]
	v_add_f64 v[52:53], v[95:96], v[66:67]
	v_add_f64 v[50:51], v[113:114], v[85:86]
	;; [unrolled: 1-line block ×7, first 2 shown]
	v_add_f64 v[68:69], v[95:96], -v[66:67]
	v_add_f64 v[66:67], v[113:114], -v[85:86]
	;; [unrolled: 1-line block ×7, first 2 shown]
	v_and_b32_e32 v83, 0xffff, v97
	v_and_b32_e32 v78, 0xff, v98
	v_lshl_add_u32 v163, v83, 4, v165
	v_mad_u64_u32 v[83:84], null, 0x90, v78, s[2:3]
	ds_write_b128 v163, v[40:43]
	ds_write_b128 v163, v[44:47] offset:80
	ds_write_b128 v163, v[48:51] offset:16
	;; [unrolled: 1-line block ×9, first 2 shown]
	s_waitcnt lgkmcnt(0)
	s_barrier
	buffer_gl0_inv
	s_clause 0x8
	global_load_dwordx4 v[44:47], v[83:84], off offset:32
	global_load_dwordx4 v[52:55], v[83:84], off offset:64
	;; [unrolled: 1-line block ×4, first 2 shown]
	global_load_dwordx4 v[40:43], v[83:84], off
	global_load_dwordx4 v[72:75], v[83:84], off offset:16
	global_load_dwordx4 v[68:71], v[83:84], off offset:48
	;; [unrolled: 1-line block ×4, first 2 shown]
	ds_read_b128 v[79:82], v160 offset:1440
	ds_read_b128 v[83:86], v160 offset:2400
	;; [unrolled: 1-line block ×9, first 2 shown]
	ds_read_b128 v[115:118], v160
	s_waitcnt vmcnt(0) lgkmcnt(0)
	s_barrier
	buffer_gl0_inv
	v_mul_f64 v[119:120], v[79:80], v[46:47]
	v_mul_f64 v[121:122], v[85:86], v[54:55]
	;; [unrolled: 1-line block ×15, first 2 shown]
	v_fma_f64 v[81:82], v[81:82], v[44:45], v[119:120]
	v_fma_f64 v[83:84], v[83:84], v[52:53], -v[121:122]
	v_fma_f64 v[85:86], v[85:86], v[52:53], v[123:124]
	v_fma_f64 v[89:90], v[89:90], v[48:49], v[125:126]
	v_fma_f64 v[87:88], v[87:88], v[48:49], -v[129:130]
	v_fma_f64 v[93:94], v[93:94], v[56:57], v[127:128]
	v_mul_f64 v[119:120], v[113:114], v[62:63]
	v_fma_f64 v[79:80], v[79:80], v[44:45], -v[131:132]
	v_fma_f64 v[91:92], v[91:92], v[56:57], -v[133:134]
	v_mul_f64 v[121:122], v[107:108], v[66:67]
	v_fma_f64 v[95:96], v[95:96], v[40:41], -v[135:136]
	v_fma_f64 v[97:98], v[97:98], v[40:41], v[137:138]
	v_mul_f64 v[123:124], v[111:112], v[62:63]
	v_fma_f64 v[103:104], v[103:104], v[68:69], -v[143:144]
	v_fma_f64 v[107:108], v[107:108], v[64:65], -v[147:148]
	;; [unrolled: 1-line block ×3, first 2 shown]
	v_fma_f64 v[105:106], v[105:106], v[68:69], v[145:146]
	v_fma_f64 v[101:102], v[101:102], v[72:73], v[141:142]
	v_add_f64 v[174:175], v[81:82], -v[85:86]
	v_add_f64 v[125:126], v[85:86], v[89:90]
	v_add_f64 v[129:130], v[83:84], v[87:88]
	v_add_f64 v[127:128], v[81:82], v[93:94]
	v_fma_f64 v[111:112], v[111:112], v[60:61], -v[119:120]
	v_add_f64 v[133:134], v[81:82], -v[93:94]
	v_add_f64 v[119:120], v[79:80], v[91:92]
	v_fma_f64 v[109:110], v[109:110], v[64:65], v[121:122]
	v_add_f64 v[131:132], v[79:80], -v[91:92]
	v_add_f64 v[137:138], v[85:86], -v[89:90]
	v_fma_f64 v[113:114], v[113:114], v[60:61], v[123:124]
	v_add_f64 v[123:124], v[83:84], -v[87:88]
	v_add_f64 v[121:122], v[103:104], v[107:108]
	v_add_f64 v[170:171], v[79:80], -v[83:84]
	v_add_f64 v[172:173], v[91:92], -v[87:88]
	;; [unrolled: 1-line block ×7, first 2 shown]
	v_add_f64 v[143:144], v[115:116], v[99:100]
	v_add_f64 v[145:146], v[117:118], v[101:102]
	;; [unrolled: 1-line block ×3, first 2 shown]
	v_fma_f64 v[125:126], v[125:126], -0.5, v[97:98]
	v_fma_f64 v[129:130], v[129:130], -0.5, v[95:96]
	;; [unrolled: 1-line block ×3, first 2 shown]
	v_add_f64 v[135:136], v[99:100], v[111:112]
	v_add_f64 v[81:82], v[97:98], v[81:82]
	v_fma_f64 v[119:120], v[119:120], -0.5, v[95:96]
	v_add_f64 v[139:140], v[105:106], v[109:110]
	v_add_f64 v[147:148], v[99:100], -v[103:104]
	v_add_f64 v[149:150], v[111:112], -v[107:108]
	v_add_f64 v[141:142], v[101:102], v[113:114]
	v_add_f64 v[151:152], v[103:104], -v[99:100]
	v_add_f64 v[196:197], v[105:106], -v[109:110]
	;; [unrolled: 1-line block ×4, first 2 shown]
	v_fma_f64 v[99:100], v[121:122], -0.5, v[115:116]
	v_add_f64 v[194:195], v[103:104], -v[107:108]
	v_add_f64 v[153:154], v[107:108], -v[111:112]
	;; [unrolled: 1-line block ×4, first 2 shown]
	v_add_f64 v[103:104], v[143:144], v[103:104]
	v_add_f64 v[105:106], v[145:146], v[105:106]
	;; [unrolled: 1-line block ×3, first 2 shown]
	v_fma_f64 v[182:183], v[131:132], s[12:13], v[125:126]
	v_fma_f64 v[186:187], v[133:134], s[0:1], v[129:130]
	;; [unrolled: 1-line block ×8, first 2 shown]
	v_fma_f64 v[115:116], v[135:136], -0.5, v[115:116]
	v_fma_f64 v[121:122], v[139:140], -0.5, v[117:118]
	v_add_f64 v[135:136], v[170:171], v[172:173]
	v_add_f64 v[139:140], v[174:175], v[176:177]
	;; [unrolled: 1-line block ×3, first 2 shown]
	v_fma_f64 v[117:118], v[141:142], -0.5, v[117:118]
	v_add_f64 v[141:142], v[188:189], v[190:191]
	v_add_f64 v[81:82], v[81:82], v[85:86]
	v_add_f64 v[168:169], v[113:114], -v[109:110]
	v_fma_f64 v[83:84], v[97:98], s[0:1], v[99:100]
	v_fma_f64 v[85:86], v[97:98], s[12:13], v[99:100]
	v_add_f64 v[103:104], v[103:104], v[107:108]
	v_add_f64 v[105:106], v[105:106], v[109:110]
	;; [unrolled: 1-line block ×3, first 2 shown]
	v_fma_f64 v[172:173], v[123:124], s[16:17], v[182:183]
	v_fma_f64 v[176:177], v[137:138], s[6:7], v[186:187]
	;; [unrolled: 1-line block ×8, first 2 shown]
	v_add_f64 v[125:126], v[147:148], v[149:150]
	v_fma_f64 v[99:100], v[196:197], s[12:13], v[115:116]
	v_fma_f64 v[137:138], v[95:96], s[12:13], v[121:122]
	v_add_f64 v[133:134], v[109:110], -v[113:114]
	v_fma_f64 v[115:116], v[196:197], s[0:1], v[115:116]
	v_fma_f64 v[149:150], v[194:195], s[0:1], v[117:118]
	v_add_f64 v[131:132], v[151:152], v[153:154]
	v_fma_f64 v[117:118], v[194:195], s[12:13], v[117:118]
	v_fma_f64 v[121:122], v[95:96], s[0:1], v[121:122]
	v_add_f64 v[81:82], v[81:82], v[89:90]
	;; [unrolled: 3-line block ×3, first 2 shown]
	v_add_f64 v[105:106], v[105:106], v[113:114]
	v_fma_f64 v[143:144], v[139:140], s[14:15], v[172:173]
	v_fma_f64 v[147:148], v[135:136], s[14:15], v[176:177]
	v_fma_f64 v[145:146], v[170:171], s[14:15], v[174:175]
	v_fma_f64 v[129:130], v[135:136], s[14:15], v[129:130]
	v_fma_f64 v[127:128], v[170:171], s[14:15], v[127:128]
	v_fma_f64 v[151:152], v[141:142], s[14:15], v[178:179]
	v_fma_f64 v[119:120], v[141:142], s[14:15], v[119:120]
	v_fma_f64 v[123:124], v[139:140], s[14:15], v[123:124]
	v_add_f64 v[135:136], v[166:167], v[168:169]
	v_fma_f64 v[87:88], v[97:98], s[6:7], v[99:100]
	v_fma_f64 v[89:90], v[194:195], s[16:17], v[137:138]
	v_add_f64 v[101:102], v[101:102], v[133:134]
	v_fma_f64 v[97:98], v[97:98], s[16:17], v[115:116]
	v_fma_f64 v[115:116], v[95:96], s[16:17], v[149:150]
	;; [unrolled: 3-line block ×4, first 2 shown]
	v_mov_b32_e32 v79, 0x64
	v_mul_f64 v[99:100], v[143:144], s[6:7]
	v_mul_f64 v[109:110], v[147:148], s[16:17]
	;; [unrolled: 1-line block ×8, first 2 shown]
	v_mul_u32_u24_sdwa v77, v77, v79 dst_sel:DWORD dst_unused:UNUSED_PAD src0_sel:WORD_0 src1_sel:DWORD
	v_fma_f64 v[125:126], v[131:132], s[14:15], v[87:88]
	v_fma_f64 v[149:150], v[135:136], s[14:15], v[89:90]
	;; [unrolled: 1-line block ×3, first 2 shown]
	v_add_f64 v[79:80], v[103:104], v[91:92]
	v_add_f64 v[83:84], v[103:104], -v[91:92]
	v_fma_f64 v[121:122], v[135:136], s[14:15], v[121:122]
	v_add_f64 v[81:82], v[105:106], v[93:94]
	v_add_f64 v[85:86], v[105:106], -v[93:94]
	v_add_nc_u32_e32 v77, v77, v78
	v_fma_f64 v[99:100], v[147:148], s[18:19], v[99:100]
	v_fma_f64 v[109:110], v[143:144], s[18:19], v[109:110]
	;; [unrolled: 1-line block ×4, first 2 shown]
	v_fma_f64 v[117:118], v[123:124], s[6:7], -v[117:118]
	v_fma_f64 v[127:128], v[127:128], s[0:1], -v[133:134]
	v_fma_f64 v[131:132], v[145:146], s[14:15], v[137:138]
	v_fma_f64 v[133:134], v[101:102], s[14:15], v[95:96]
	v_fma_f64 v[123:124], v[151:152], s[12:13], -v[139:140]
	v_fma_f64 v[129:130], v[129:130], s[16:17], -v[141:142]
	v_lshl_add_u32 v164, v77, 4, v165
                                        ; implicit-def: $vgpr152_vgpr153
	v_add_f64 v[87:88], v[111:112], v[99:100]
	v_add_f64 v[89:90], v[149:150], v[109:110]
	v_add_f64 v[91:92], v[125:126], v[107:108]
	v_add_f64 v[95:96], v[111:112], -v[99:100]
	v_add_f64 v[97:98], v[149:150], -v[109:110]
	v_add_f64 v[99:100], v[119:120], v[127:128]
	v_add_f64 v[93:94], v[115:116], v[131:132]
	v_add_f64 v[103:104], v[125:126], -v[107:108]
	v_add_f64 v[101:102], v[133:134], v[123:124]
	v_add_f64 v[107:108], v[113:114], v[117:118]
	;; [unrolled: 1-line block ×3, first 2 shown]
	v_add_f64 v[105:106], v[115:116], -v[131:132]
	v_add_f64 v[111:112], v[119:120], -v[127:128]
	;; [unrolled: 1-line block ×5, first 2 shown]
	ds_write_b128 v164, v[79:82]
	ds_write_b128 v164, v[83:86] offset:800
	ds_write_b128 v164, v[87:90] offset:160
	ds_write_b128 v164, v[91:94] offset:320
	ds_write_b128 v164, v[99:102] offset:480
	ds_write_b128 v164, v[107:110] offset:640
	ds_write_b128 v164, v[95:98] offset:960
	ds_write_b128 v164, v[103:106] offset:1120
	ds_write_b128 v164, v[111:114] offset:1280
	ds_write_b128 v164, v[116:119] offset:1440
	s_waitcnt lgkmcnt(0)
	s_barrier
	buffer_gl0_inv
	ds_read_b128 v[112:115], v160
	ds_read_b128 v[108:111], v160 offset:480
	ds_read_b128 v[132:135], v160 offset:3200
	;; [unrolled: 1-line block ×8, first 2 shown]
                                        ; implicit-def: $vgpr148_vgpr149
	s_and_saveexec_b32 s0, vcc_lo
	s_cbranch_execz .LBB0_3
; %bb.2:
	ds_read_b128 v[116:119], v160 offset:1440
	ds_read_b128 v[148:151], v160 offset:3040
	;; [unrolled: 1-line block ×3, first 2 shown]
.LBB0_3:
	s_or_b32 exec_lo, exec_lo, s0
	v_add_co_u32 v76, s0, 0x5a, v159
	v_add_co_ci_u32_e64 v77, null, 0, 0, s0
	v_add_co_u32 v78, s0, v159, -10
	v_add_co_ci_u32_e64 v79, null, 0, -1, s0
	v_lshlrev_b32_e32 v80, 5, v159
	v_cndmask_b32_e32 v76, v78, v76, vcc_lo
	v_cndmask_b32_e32 v77, v79, v77, vcc_lo
	v_add_nc_u32_e32 v79, 0x780, v80
	v_add_nc_u32_e32 v78, 0x3c0, v80
	global_load_dwordx4 v[84:87], v80, s[2:3] offset:1440
	v_lshlrev_b64 v[76:77], 5, v[76:77]
	s_clause 0x3
	global_load_dwordx4 v[104:107], v80, s[2:3] offset:1456
	global_load_dwordx4 v[92:95], v78, s[2:3] offset:1456
	;; [unrolled: 1-line block ×4, first 2 shown]
	v_add_co_u32 v76, s0, s2, v76
	v_add_co_ci_u32_e64 v77, s0, s3, v77, s0
	s_clause 0x2
	global_load_dwordx4 v[96:99], v79, s[2:3] offset:1456
	global_load_dwordx4 v[80:83], v[76:77], off offset:1440
	global_load_dwordx4 v[76:79], v[76:77], off offset:1456
	s_mov_b32 s0, 0xe8584caa
	s_mov_b32 s1, 0x3febb67a
	s_mov_b32 s3, 0xbfebb67a
	s_mov_b32 s2, s0
	s_waitcnt vmcnt(7) lgkmcnt(4)
	v_mul_f64 v[166:167], v[146:147], v[86:87]
	v_mul_f64 v[168:169], v[144:145], v[86:87]
	s_waitcnt vmcnt(6)
	v_mul_f64 v[170:171], v[134:135], v[106:107]
	v_mul_f64 v[172:173], v[132:133], v[106:107]
	s_waitcnt vmcnt(4) lgkmcnt(2)
	v_mul_f64 v[174:175], v[142:143], v[102:103]
	v_mul_f64 v[176:177], v[140:141], v[102:103]
	;; [unrolled: 1-line block ×4, first 2 shown]
	s_waitcnt vmcnt(3) lgkmcnt(1)
	v_mul_f64 v[182:183], v[138:139], v[90:91]
	v_mul_f64 v[184:185], v[136:137], v[90:91]
	s_waitcnt vmcnt(2) lgkmcnt(0)
	v_mul_f64 v[186:187], v[130:131], v[98:99]
	v_mul_f64 v[188:189], v[128:129], v[98:99]
	s_waitcnt vmcnt(1)
	v_mul_f64 v[190:191], v[150:151], v[82:83]
	s_waitcnt vmcnt(0)
	v_mul_f64 v[192:193], v[154:155], v[78:79]
	v_mul_f64 v[194:195], v[148:149], v[82:83]
	;; [unrolled: 1-line block ×3, first 2 shown]
	v_fma_f64 v[144:145], v[144:145], v[84:85], -v[166:167]
	v_fma_f64 v[146:147], v[146:147], v[84:85], v[168:169]
	v_fma_f64 v[132:133], v[132:133], v[104:105], -v[170:171]
	v_fma_f64 v[134:135], v[134:135], v[104:105], v[172:173]
	;; [unrolled: 2-line block ×6, first 2 shown]
	v_fma_f64 v[126:127], v[148:149], v[80:81], -v[190:191]
	v_fma_f64 v[124:125], v[152:153], v[76:77], -v[192:193]
	v_fma_f64 v[130:131], v[150:151], v[80:81], v[194:195]
	v_fma_f64 v[128:129], v[154:155], v[76:77], v[196:197]
	v_add_f64 v[182:183], v[112:113], v[144:145]
	v_add_f64 v[148:149], v[144:145], v[132:133]
	;; [unrolled: 1-line block ×3, first 2 shown]
	v_add_f64 v[184:185], v[146:147], -v[134:135]
	v_add_f64 v[146:147], v[114:115], v[146:147]
	v_add_f64 v[152:153], v[140:141], v[166:167]
	;; [unrolled: 1-line block ×5, first 2 shown]
	v_add_f64 v[194:195], v[144:145], -v[132:133]
	v_add_f64 v[174:175], v[136:137], v[170:171]
	v_add_f64 v[176:177], v[138:139], v[172:173]
	v_add_f64 v[196:197], v[142:143], -v[168:169]
	v_add_f64 v[178:179], v[126:127], v[124:125]
	v_add_f64 v[198:199], v[140:141], -v[166:167]
	;; [unrolled: 2-line block ×3, first 2 shown]
	v_add_f64 v[206:207], v[126:127], -v[124:125]
	v_add_f64 v[190:191], v[120:121], v[136:137]
	v_add_f64 v[192:193], v[122:123], v[138:139]
	v_add_f64 v[200:201], v[138:139], -v[172:173]
	v_add_f64 v[202:203], v[136:137], -v[170:171]
	v_add_f64 v[132:133], v[182:183], v[132:133]
	v_fma_f64 v[112:113], v[148:149], -0.5, v[112:113]
	v_fma_f64 v[114:115], v[150:151], -0.5, v[114:115]
	v_add_f64 v[134:135], v[146:147], v[134:135]
	v_fma_f64 v[108:109], v[152:153], -0.5, v[108:109]
	v_fma_f64 v[110:111], v[154:155], -0.5, v[110:111]
	v_add_f64 v[136:137], v[186:187], v[166:167]
	v_add_f64 v[138:139], v[188:189], v[168:169]
	v_fma_f64 v[120:121], v[174:175], -0.5, v[120:121]
	v_fma_f64 v[122:123], v[176:177], -0.5, v[122:123]
	;; [unrolled: 1-line block ×4, first 2 shown]
	v_add_f64 v[140:141], v[190:191], v[170:171]
	v_add_f64 v[142:143], v[192:193], v[172:173]
	v_fma_f64 v[144:145], v[184:185], s[0:1], v[112:113]
	v_fma_f64 v[148:149], v[184:185], s[2:3], v[112:113]
	;; [unrolled: 1-line block ×16, first 2 shown]
	v_lshl_add_u32 v120, v159, 4, v165
	ds_write_b128 v160, v[132:135]
	ds_write_b128 v120, v[144:147] offset:1600
	ds_write_b128 v120, v[148:151] offset:3200
	;; [unrolled: 1-line block ×8, first 2 shown]
	s_and_saveexec_b32 s0, vcc_lo
	s_cbranch_execz .LBB0_5
; %bb.4:
	v_add_f64 v[118:119], v[118:119], v[130:131]
	v_add_f64 v[116:117], v[116:117], v[126:127]
	;; [unrolled: 1-line block ×4, first 2 shown]
	ds_write_b128 v160, v[116:119] offset:1440
	ds_write_b128 v120, v[108:111] offset:3040
	;; [unrolled: 1-line block ×3, first 2 shown]
.LBB0_5:
	s_or_b32 exec_lo, exec_lo, s0
	v_add_co_u32 v133, s0, 0x12c0, v161
	v_add_co_ci_u32_e64 v134, s0, 0, v162, s0
	s_waitcnt lgkmcnt(0)
	s_barrier
	buffer_gl0_inv
	s_clause 0x1
	global_load_dwordx4 v[116:119], v[157:158], off offset:704
	global_load_dwordx4 v[121:124], v[133:134], off offset:480
	v_add_co_u32 v145, s0, 0x1800, v161
	v_add_co_ci_u32_e64 v146, s0, 0, v162, s0
	v_add_co_u32 v153, s0, 0x2000, v161
	s_clause 0x3
	global_load_dwordx4 v[125:128], v[133:134], off offset:960
	global_load_dwordx4 v[129:132], v[133:134], off offset:1440
	global_load_dwordx4 v[133:136], v[133:134], off offset:1920
	global_load_dwordx4 v[137:140], v[145:146], off offset:1056
	v_add_co_ci_u32_e64 v154, s0, 0, v162, s0
	s_clause 0x3
	global_load_dwordx4 v[141:144], v[145:146], off offset:1536
	global_load_dwordx4 v[145:148], v[145:146], off offset:2016
	;; [unrolled: 1-line block ×4, first 2 shown]
	ds_read_b128 v[169:172], v160
	ds_read_b128 v[173:176], v160 offset:480
	ds_read_b128 v[177:180], v160 offset:960
	;; [unrolled: 1-line block ×9, first 2 shown]
	s_mov_b32 s6, 0x134454ff
	s_mov_b32 s7, 0xbfee6f0e
	s_mov_b32 s3, 0x3fee6f0e
	s_mov_b32 s2, s6
	s_mov_b32 s12, 0x4755a5e
	s_mov_b32 s13, 0xbfe2cf23
	s_mov_b32 s15, 0x3fe2cf23
	s_mov_b32 s14, s12
	s_mov_b32 s0, 0x372fe950
	s_mov_b32 s1, 0x3fd3c6ef
	s_mov_b32 s16, 0x9b97f4a8
	s_mov_b32 s19, 0xbfd3c6ef
	s_mov_b32 s18, s0
	s_mov_b32 s17, 0x3fe9e377
	s_mov_b32 s21, 0xbfe9e377
	s_mov_b32 s20, s16
	s_waitcnt vmcnt(9) lgkmcnt(9)
	v_mul_f64 v[153:154], v[171:172], v[118:119]
	v_mul_f64 v[118:119], v[169:170], v[118:119]
	s_waitcnt vmcnt(8) lgkmcnt(8)
	v_mul_f64 v[157:158], v[175:176], v[123:124]
	v_mul_f64 v[123:124], v[173:174], v[123:124]
	s_waitcnt vmcnt(7) lgkmcnt(7)
	v_mul_f64 v[161:162], v[179:180], v[127:128]
	v_mul_f64 v[127:128], v[177:178], v[127:128]
	s_waitcnt vmcnt(6) lgkmcnt(6)
	v_mul_f64 v[209:210], v[183:184], v[131:132]
	v_mul_f64 v[131:132], v[181:182], v[131:132]
	s_waitcnt vmcnt(5) lgkmcnt(5)
	v_mul_f64 v[211:212], v[187:188], v[135:136]
	v_mul_f64 v[135:136], v[185:186], v[135:136]
	s_waitcnt vmcnt(4) lgkmcnt(4)
	v_mul_f64 v[213:214], v[191:192], v[139:140]
	v_mul_f64 v[139:140], v[189:190], v[139:140]
	s_waitcnt vmcnt(3) lgkmcnt(3)
	v_mul_f64 v[215:216], v[195:196], v[143:144]
	v_mul_f64 v[143:144], v[193:194], v[143:144]
	s_waitcnt vmcnt(2) lgkmcnt(2)
	v_mul_f64 v[217:218], v[199:200], v[147:148]
	v_mul_f64 v[147:148], v[197:198], v[147:148]
	s_waitcnt vmcnt(1) lgkmcnt(1)
	v_mul_f64 v[219:220], v[203:204], v[151:152]
	v_mul_f64 v[221:222], v[201:202], v[151:152]
	s_waitcnt vmcnt(0) lgkmcnt(0)
	v_mul_f64 v[223:224], v[207:208], v[167:168]
	v_mul_f64 v[225:226], v[205:206], v[167:168]
	v_fma_f64 v[151:152], v[169:170], v[116:117], -v[153:154]
	v_fma_f64 v[153:154], v[171:172], v[116:117], v[118:119]
	v_fma_f64 v[116:117], v[173:174], v[121:122], -v[157:158]
	v_fma_f64 v[118:119], v[175:176], v[121:122], v[123:124]
	v_fma_f64 v[121:122], v[177:178], v[125:126], -v[161:162]
	v_fma_f64 v[123:124], v[179:180], v[125:126], v[127:128]
	v_fma_f64 v[125:126], v[181:182], v[129:130], -v[209:210]
	v_fma_f64 v[127:128], v[183:184], v[129:130], v[131:132]
	v_fma_f64 v[129:130], v[185:186], v[133:134], -v[211:212]
	v_fma_f64 v[131:132], v[187:188], v[133:134], v[135:136]
	v_fma_f64 v[133:134], v[189:190], v[137:138], -v[213:214]
	v_fma_f64 v[135:136], v[191:192], v[137:138], v[139:140]
	v_fma_f64 v[137:138], v[193:194], v[141:142], -v[215:216]
	v_fma_f64 v[139:140], v[195:196], v[141:142], v[143:144]
	v_fma_f64 v[141:142], v[197:198], v[145:146], -v[217:218]
	v_fma_f64 v[143:144], v[199:200], v[145:146], v[147:148]
	v_fma_f64 v[145:146], v[201:202], v[149:150], -v[219:220]
	v_fma_f64 v[147:148], v[203:204], v[149:150], v[221:222]
	v_fma_f64 v[167:168], v[205:206], v[165:166], -v[223:224]
	v_fma_f64 v[169:170], v[207:208], v[165:166], v[225:226]
	ds_write_b128 v160, v[151:154]
	ds_write_b128 v160, v[116:119] offset:480
	ds_write_b128 v160, v[121:124] offset:960
	;; [unrolled: 1-line block ×9, first 2 shown]
	s_waitcnt lgkmcnt(0)
	s_barrier
	buffer_gl0_inv
	ds_read_b128 v[116:119], v160 offset:1440
	ds_read_b128 v[121:124], v160 offset:2400
	;; [unrolled: 1-line block ×8, first 2 shown]
	ds_read_b128 v[149:152], v160
	ds_read_b128 v[165:168], v160 offset:480
	s_waitcnt lgkmcnt(0)
	s_barrier
	buffer_gl0_inv
	v_add_f64 v[205:206], v[116:117], -v[121:122]
	v_add_f64 v[153:154], v[123:124], v[127:128]
	v_add_f64 v[157:158], v[118:119], v[131:132]
	;; [unrolled: 1-line block ×4, first 2 shown]
	v_add_f64 v[183:184], v[116:117], -v[129:130]
	v_add_f64 v[185:186], v[121:122], -v[125:126]
	;; [unrolled: 1-line block ×3, first 2 shown]
	v_add_f64 v[169:170], v[149:150], v[133:134]
	v_add_f64 v[171:172], v[137:138], v[141:142]
	;; [unrolled: 1-line block ×5, first 2 shown]
	v_add_f64 v[207:208], v[129:130], -v[125:126]
	v_add_f64 v[209:210], v[118:119], -v[123:124]
	;; [unrolled: 1-line block ×6, first 2 shown]
	v_add_f64 v[195:196], v[151:152], v[135:136]
	v_add_f64 v[118:119], v[167:168], v[118:119]
	v_add_f64 v[173:174], v[135:136], -v[147:148]
	v_add_f64 v[175:176], v[139:140], -v[143:144]
	v_fma_f64 v[153:154], v[153:154], -0.5, v[167:168]
	v_fma_f64 v[157:158], v[157:158], -0.5, v[167:168]
	;; [unrolled: 1-line block ×4, first 2 shown]
	v_add_f64 v[165:166], v[165:166], v[116:117]
	v_add_f64 v[177:178], v[133:134], -v[137:138]
	v_add_f64 v[179:180], v[145:146], -v[141:142]
	;; [unrolled: 1-line block ×8, first 2 shown]
	v_fma_f64 v[167:168], v[171:172], -0.5, v[149:150]
	v_add_f64 v[137:138], v[169:170], v[137:138]
	v_fma_f64 v[149:150], v[187:188], -0.5, v[149:150]
	v_fma_f64 v[169:170], v[197:198], -0.5, v[151:152]
	v_fma_f64 v[151:152], v[203:204], -0.5, v[151:152]
	v_add_f64 v[171:172], v[205:206], v[207:208]
	v_add_f64 v[187:188], v[209:210], v[211:212]
	;; [unrolled: 1-line block ×3, first 2 shown]
	v_add_f64 v[201:202], v[135:136], -v[139:140]
	v_fma_f64 v[221:222], v[183:184], s[2:3], v[153:154]
	v_fma_f64 v[223:224], v[185:186], s[6:7], v[157:158]
	;; [unrolled: 1-line block ×8, first 2 shown]
	v_add_f64 v[135:136], v[139:140], -v[135:136]
	v_add_f64 v[139:140], v[195:196], v[139:140]
	v_add_f64 v[121:122], v[165:166], v[121:122]
	;; [unrolled: 1-line block ×3, first 2 shown]
	v_add_f64 v[219:220], v[147:148], -v[143:144]
	v_add_f64 v[177:178], v[177:178], v[179:180]
	v_add_f64 v[179:180], v[191:192], v[193:194]
	;; [unrolled: 1-line block ×3, first 2 shown]
	v_fma_f64 v[123:124], v[173:174], s[6:7], v[167:168]
	v_fma_f64 v[165:166], v[173:174], s[2:3], v[167:168]
	v_fma_f64 v[167:168], v[175:176], s[2:3], v[149:150]
	v_fma_f64 v[149:150], v[175:176], s[6:7], v[149:150]
	v_fma_f64 v[191:192], v[199:200], s[6:7], v[151:152]
	v_fma_f64 v[151:152], v[199:200], s[2:3], v[151:152]
	v_fma_f64 v[205:206], v[185:186], s[14:15], v[221:222]
	v_fma_f64 v[207:208], v[183:184], s[14:15], v[223:224]
	v_fma_f64 v[157:158], v[183:184], s[12:13], v[157:158]
	v_fma_f64 v[183:184], v[217:218], s[12:13], v[225:226]
	v_fma_f64 v[153:154], v[185:186], s[12:13], v[153:154]
	v_fma_f64 v[185:186], v[133:134], s[2:3], v[169:170]
	v_fma_f64 v[169:170], v[133:134], s[6:7], v[169:170]
	v_fma_f64 v[161:162], v[217:218], s[14:15], v[161:162]
	v_fma_f64 v[193:194], v[189:190], s[12:13], v[203:204]
	v_fma_f64 v[181:182], v[189:190], s[14:15], v[181:182]
	v_add_f64 v[227:228], v[143:144], -v[147:148]
	v_add_f64 v[137:138], v[137:138], v[141:142]
	v_add_f64 v[139:140], v[139:140], v[143:144]
	;; [unrolled: 1-line block ×4, first 2 shown]
	v_fma_f64 v[123:124], v[175:176], s[12:13], v[123:124]
	v_fma_f64 v[125:126], v[175:176], s[14:15], v[165:166]
	;; [unrolled: 1-line block ×11, first 2 shown]
	v_add_f64 v[187:188], v[201:202], v[219:220]
	v_fma_f64 v[143:144], v[199:200], s[14:15], v[185:186]
	v_fma_f64 v[149:150], v[199:200], s[12:13], v[169:170]
	;; [unrolled: 1-line block ×4, first 2 shown]
	v_add_f64 v[135:136], v[135:136], v[227:228]
	v_fma_f64 v[116:117], v[116:117], s[0:1], v[181:182]
	v_add_f64 v[137:138], v[137:138], v[145:146]
	v_add_f64 v[139:140], v[139:140], v[147:148]
	;; [unrolled: 1-line block ×4, first 2 shown]
	v_fma_f64 v[145:146], v[177:178], s[0:1], v[123:124]
	v_fma_f64 v[147:148], v[177:178], s[0:1], v[125:126]
	;; [unrolled: 1-line block ×4, first 2 shown]
	v_mul_f64 v[167:168], v[189:190], s[12:13]
	v_mul_f64 v[169:170], v[195:196], s[6:7]
	;; [unrolled: 1-line block ×8, first 2 shown]
	v_fma_f64 v[143:144], v[187:188], s[0:1], v[143:144]
	v_fma_f64 v[185:186], v[187:188], s[0:1], v[149:150]
	;; [unrolled: 1-line block ×4, first 2 shown]
	v_add_f64 v[118:119], v[139:140], v[129:130]
	v_add_f64 v[123:124], v[139:140], -v[129:130]
	v_fma_f64 v[141:142], v[183:184], s[16:17], v[167:168]
	v_fma_f64 v[149:150], v[161:162], s[0:1], v[169:170]
	;; [unrolled: 1-line block ×8, first 2 shown]
	v_add_f64 v[116:117], v[137:138], v[121:122]
	v_add_f64 v[121:122], v[137:138], -v[121:122]
	v_add_f64 v[125:126], v[145:146], v[141:142]
	v_add_f64 v[129:130], v[177:178], v[149:150]
	;; [unrolled: 1-line block ×8, first 2 shown]
	v_add_f64 v[141:142], v[145:146], -v[141:142]
	v_add_f64 v[143:144], v[143:144], -v[169:170]
	;; [unrolled: 1-line block ×8, first 2 shown]
	ds_write_b128 v163, v[116:119]
	ds_write_b128 v163, v[121:124] offset:80
	ds_write_b128 v163, v[125:128] offset:16
	;; [unrolled: 1-line block ×9, first 2 shown]
	s_waitcnt lgkmcnt(0)
	s_barrier
	buffer_gl0_inv
	ds_read_b128 v[116:119], v160 offset:1440
	ds_read_b128 v[121:124], v160 offset:2400
	;; [unrolled: 1-line block ×9, first 2 shown]
	s_waitcnt lgkmcnt(8)
	v_mul_f64 v[153:154], v[46:47], v[116:117]
	s_waitcnt lgkmcnt(7)
	v_mul_f64 v[157:158], v[54:55], v[121:122]
	;; [unrolled: 2-line block ×5, first 2 shown]
	v_mul_f64 v[46:47], v[46:47], v[118:119]
	v_mul_f64 v[54:55], v[54:55], v[123:124]
	;; [unrolled: 1-line block ×4, first 2 shown]
	s_waitcnt lgkmcnt(3)
	v_mul_f64 v[171:172], v[74:75], v[139:140]
	v_mul_f64 v[74:75], v[74:75], v[137:138]
	s_waitcnt lgkmcnt(0)
	v_mul_f64 v[177:178], v[62:63], v[149:150]
	v_mul_f64 v[62:63], v[62:63], v[151:152]
	;; [unrolled: 1-line block ×7, first 2 shown]
	v_fma_f64 v[118:119], v[44:45], v[118:119], -v[153:154]
	v_fma_f64 v[123:124], v[52:53], v[123:124], -v[157:158]
	;; [unrolled: 1-line block ×4, first 2 shown]
	ds_read_b128 v[165:168], v160
	v_fma_f64 v[44:45], v[44:45], v[116:117], v[46:47]
	v_fma_f64 v[52:53], v[52:53], v[121:122], v[54:55]
	;; [unrolled: 1-line block ×4, first 2 shown]
	v_fma_f64 v[56:57], v[40:41], v[135:136], -v[169:170]
	v_fma_f64 v[137:138], v[72:73], v[137:138], v[171:172]
	v_fma_f64 v[72:73], v[72:73], v[139:140], -v[74:75]
	v_fma_f64 v[74:75], v[60:61], v[151:152], -v[177:178]
	v_fma_f64 v[54:55], v[60:61], v[149:150], v[62:63]
	v_fma_f64 v[46:47], v[68:69], v[141:142], v[173:174]
	v_fma_f64 v[68:69], v[68:69], v[143:144], -v[70:71]
	v_fma_f64 v[70:71], v[64:65], v[145:146], v[175:176]
	v_fma_f64 v[64:65], v[64:65], v[147:148], -v[66:67]
	v_fma_f64 v[40:41], v[40:41], v[133:134], v[42:43]
	s_waitcnt lgkmcnt(0)
	s_barrier
	buffer_gl0_inv
	v_add_f64 v[171:172], v[118:119], -v[123:124]
	v_add_f64 v[58:59], v[123:124], v[127:128]
	v_add_f64 v[60:61], v[118:119], v[131:132]
	v_add_f64 v[169:170], v[118:119], -v[131:132]
	v_add_f64 v[173:174], v[131:132], -v[127:128]
	;; [unrolled: 1-line block ×3, first 2 shown]
	v_add_f64 v[129:130], v[52:53], v[48:49]
	v_add_f64 v[133:134], v[44:45], v[50:51]
	v_add_f64 v[135:136], v[44:45], -v[50:51]
	v_add_f64 v[139:140], v[52:53], -v[48:49]
	v_add_f64 v[42:43], v[165:166], v[137:138]
	v_add_f64 v[161:162], v[72:73], v[74:75]
	v_add_f64 v[141:142], v[137:138], v[54:55]
	v_add_f64 v[121:122], v[137:138], -v[46:47]
	v_add_f64 v[175:176], v[123:124], -v[118:119]
	v_add_f64 v[62:63], v[46:47], v[70:71]
	v_add_f64 v[125:126], v[54:55], -v[70:71]
	v_add_f64 v[149:150], v[68:69], v[64:65]
	;; [unrolled: 2-line block ×3, first 2 shown]
	v_add_f64 v[66:67], v[72:73], -v[74:75]
	v_add_f64 v[116:117], v[68:69], -v[64:65]
	;; [unrolled: 1-line block ×3, first 2 shown]
	v_fma_f64 v[58:59], v[58:59], -0.5, v[56:57]
	v_fma_f64 v[60:61], v[60:61], -0.5, v[56:57]
	v_add_f64 v[56:57], v[56:57], v[118:119]
	v_add_f64 v[145:146], v[70:71], -v[54:55]
	v_add_f64 v[137:138], v[137:138], -v[54:55]
	v_fma_f64 v[129:130], v[129:130], -0.5, v[40:41]
	v_fma_f64 v[133:134], v[133:134], -0.5, v[40:41]
	v_add_f64 v[40:41], v[40:41], v[44:45]
	v_add_f64 v[151:152], v[46:47], -v[70:71]
	v_add_f64 v[187:188], v[44:45], -v[52:53]
	;; [unrolled: 1-line block ×3, first 2 shown]
	v_add_f64 v[42:43], v[42:43], v[46:47]
	v_fma_f64 v[46:47], v[141:142], -0.5, v[165:166]
	v_add_f64 v[141:142], v[171:172], v[173:174]
	v_fma_f64 v[62:63], v[62:63], -0.5, v[165:166]
	;; [unrolled: 2-line block ×3, first 2 shown]
	v_fma_f64 v[125:126], v[161:162], -0.5, v[167:168]
	v_add_f64 v[44:45], v[52:53], -v[44:45]
	v_add_f64 v[191:192], v[48:49], -v[50:51]
	v_add_f64 v[149:150], v[175:176], v[177:178]
	v_add_f64 v[153:154], v[72:73], -v[68:69]
	v_fma_f64 v[183:184], v[135:136], s[2:3], v[58:59]
	v_fma_f64 v[185:186], v[139:140], s[6:7], v[60:61]
	;; [unrolled: 1-line block ×4, first 2 shown]
	v_add_f64 v[72:73], v[68:69], -v[72:73]
	v_fma_f64 v[161:162], v[169:170], s[6:7], v[129:130]
	v_fma_f64 v[165:166], v[179:180], s[2:3], v[133:134]
	;; [unrolled: 1-line block ×4, first 2 shown]
	v_add_f64 v[68:69], v[147:148], v[68:69]
	v_add_f64 v[40:41], v[40:41], v[52:53]
	;; [unrolled: 1-line block ×3, first 2 shown]
	v_add_f64 v[157:158], v[74:75], -v[64:65]
	v_add_f64 v[52:53], v[187:188], v[189:190]
	v_fma_f64 v[123:124], v[66:67], s[6:7], v[62:63]
	v_add_f64 v[181:182], v[64:65], -v[74:75]
	v_fma_f64 v[62:63], v[66:67], s[2:3], v[62:63]
	v_add_f64 v[42:43], v[42:43], v[70:71]
	v_add_f64 v[44:45], v[44:45], v[191:192]
	v_fma_f64 v[167:168], v[139:140], s[14:15], v[183:184]
	v_fma_f64 v[171:172], v[135:136], s[14:15], v[185:186]
	;; [unrolled: 1-line block ×4, first 2 shown]
	v_add_f64 v[135:136], v[143:144], v[145:146]
	v_fma_f64 v[139:140], v[116:117], s[2:3], v[46:47]
	v_fma_f64 v[46:47], v[116:117], s[6:7], v[46:47]
	;; [unrolled: 1-line block ×10, first 2 shown]
	v_add_f64 v[64:65], v[68:69], v[64:65]
	v_add_f64 v[40:41], v[40:41], v[48:49]
	;; [unrolled: 1-line block ×3, first 2 shown]
	v_fma_f64 v[56:57], v[116:117], s[12:13], v[123:124]
	v_add_f64 v[72:73], v[72:73], v[181:182]
	v_fma_f64 v[62:63], v[116:117], s[14:15], v[62:63]
	v_add_f64 v[42:43], v[42:43], v[54:55]
	v_fma_f64 v[165:166], v[141:142], s[0:1], v[167:168]
	v_fma_f64 v[167:168], v[149:150], s[0:1], v[171:172]
	;; [unrolled: 1-line block ×4, first 2 shown]
	v_add_f64 v[141:142], v[153:154], v[157:158]
	v_fma_f64 v[68:69], v[66:67], s[12:13], v[139:140]
	v_fma_f64 v[46:47], v[66:67], s[14:15], v[46:47]
	;; [unrolled: 1-line block ×10, first 2 shown]
	v_add_f64 v[54:55], v[64:65], v[74:75]
	v_add_f64 v[40:41], v[40:41], v[50:51]
	;; [unrolled: 1-line block ×3, first 2 shown]
	v_fma_f64 v[74:75], v[118:119], s[0:1], v[56:57]
	v_fma_f64 v[118:119], v[118:119], s[0:1], v[62:63]
	v_mul_f64 v[127:128], v[165:166], s[12:13]
	v_mul_f64 v[139:140], v[165:166], s[16:17]
	;; [unrolled: 1-line block ×8, first 2 shown]
	v_fma_f64 v[131:132], v[135:136], s[0:1], v[68:69]
	v_fma_f64 v[145:146], v[141:142], s[0:1], v[66:67]
	;; [unrolled: 1-line block ×6, first 2 shown]
	v_add_f64 v[48:49], v[42:43], -v[40:41]
	v_add_f64 v[46:47], v[54:55], v[50:51]
	v_add_f64 v[50:51], v[54:55], -v[50:51]
	v_fma_f64 v[68:69], v[123:124], s[16:17], v[127:128]
	v_fma_f64 v[123:124], v[123:124], s[14:15], v[139:140]
	;; [unrolled: 1-line block ×8, first 2 shown]
	v_add_f64 v[44:45], v[42:43], v[40:41]
	v_add_f64 v[52:53], v[74:75], v[68:69]
	;; [unrolled: 1-line block ×9, first 2 shown]
	v_add_f64 v[68:69], v[74:75], -v[68:69]
	v_add_f64 v[72:73], v[131:132], -v[70:71]
	;; [unrolled: 1-line block ×8, first 2 shown]
	ds_write_b128 v164, v[44:47]
	ds_write_b128 v164, v[48:51] offset:800
	ds_write_b128 v164, v[52:55] offset:160
	;; [unrolled: 1-line block ×9, first 2 shown]
	s_waitcnt lgkmcnt(0)
	s_barrier
	buffer_gl0_inv
	ds_read_b128 v[52:55], v160
	ds_read_b128 v[44:47], v160 offset:480
	ds_read_b128 v[68:71], v160 offset:3200
	;; [unrolled: 1-line block ×8, first 2 shown]
	v_add_nc_u32_e32 v121, 0x3c0, v160
	s_and_saveexec_b32 s0, vcc_lo
	s_cbranch_execz .LBB0_7
; %bb.6:
	ds_read_b128 v[40:43], v160 offset:1440
	ds_read_b128 v[108:111], v160 offset:3040
	;; [unrolled: 1-line block ×3, first 2 shown]
.LBB0_7:
	s_or_b32 exec_lo, exec_lo, s0
	s_waitcnt lgkmcnt(4)
	v_mul_f64 v[122:123], v[86:87], v[118:119]
	v_mul_f64 v[124:125], v[106:107], v[70:71]
	;; [unrolled: 1-line block ×4, first 2 shown]
	s_waitcnt lgkmcnt(2)
	v_mul_f64 v[126:127], v[102:103], v[74:75]
	v_mul_f64 v[128:129], v[94:95], v[58:59]
	;; [unrolled: 1-line block ×4, first 2 shown]
	s_waitcnt lgkmcnt(1)
	v_mul_f64 v[130:131], v[90:91], v[62:63]
	s_waitcnt lgkmcnt(0)
	v_mul_f64 v[132:133], v[98:99], v[66:67]
	v_mul_f64 v[90:91], v[90:91], v[60:61]
	;; [unrolled: 1-line block ×3, first 2 shown]
	s_mov_b32 s0, 0xe8584caa
	s_mov_b32 s1, 0xbfebb67a
	s_mov_b32 s3, 0x3febb67a
	s_mov_b32 s2, s0
	v_fma_f64 v[116:117], v[84:85], v[116:117], v[122:123]
	v_fma_f64 v[68:69], v[104:105], v[68:69], v[124:125]
	v_fma_f64 v[84:85], v[84:85], v[118:119], -v[86:87]
	v_fma_f64 v[70:71], v[104:105], v[70:71], -v[106:107]
	v_fma_f64 v[72:73], v[100:101], v[72:73], v[126:127]
	v_fma_f64 v[56:57], v[92:93], v[56:57], v[128:129]
	v_fma_f64 v[74:75], v[100:101], v[74:75], -v[102:103]
	v_fma_f64 v[58:59], v[92:93], v[58:59], -v[94:95]
	v_fma_f64 v[60:61], v[88:89], v[60:61], v[130:131]
	v_fma_f64 v[64:65], v[96:97], v[64:65], v[132:133]
	v_fma_f64 v[62:63], v[88:89], v[62:63], -v[90:91]
	v_fma_f64 v[66:67], v[96:97], v[66:67], -v[98:99]
	v_add_f64 v[98:99], v[52:53], v[116:117]
	v_add_f64 v[86:87], v[116:117], v[68:69]
	v_add_f64 v[116:117], v[116:117], -v[68:69]
	v_add_f64 v[88:89], v[84:85], v[70:71]
	v_add_f64 v[100:101], v[84:85], -v[70:71]
	v_add_f64 v[90:91], v[72:73], v[56:57]
	v_add_f64 v[84:85], v[54:55], v[84:85]
	;; [unrolled: 1-line block ×9, first 2 shown]
	v_add_f64 v[74:75], v[74:75], -v[58:59]
	v_add_f64 v[72:73], v[72:73], -v[56:57]
	;; [unrolled: 1-line block ×4, first 2 shown]
	v_fma_f64 v[86:87], v[86:87], -0.5, v[52:53]
	v_fma_f64 v[88:89], v[88:89], -0.5, v[54:55]
	;; [unrolled: 1-line block ×3, first 2 shown]
	v_add_f64 v[44:45], v[98:99], v[68:69]
	v_fma_f64 v[92:93], v[92:93], -0.5, v[46:47]
	v_add_f64 v[46:47], v[84:85], v[70:71]
	v_fma_f64 v[94:95], v[94:95], -0.5, v[48:49]
	;; [unrolled: 2-line block ×3, first 2 shown]
	v_add_f64 v[50:51], v[104:105], v[58:59]
	v_add_f64 v[52:53], v[106:107], v[64:65]
	;; [unrolled: 1-line block ×3, first 2 shown]
	v_fma_f64 v[56:57], v[100:101], s[0:1], v[86:87]
	v_fma_f64 v[60:61], v[100:101], s[2:3], v[86:87]
	;; [unrolled: 1-line block ×12, first 2 shown]
	ds_write_b128 v160, v[44:47]
	ds_write_b128 v120, v[56:59] offset:1600
	ds_write_b128 v120, v[60:63] offset:3200
	;; [unrolled: 1-line block ×8, first 2 shown]
	s_and_saveexec_b32 s6, vcc_lo
	s_cbranch_execz .LBB0_9
; %bb.8:
	v_mul_f64 v[44:45], v[82:83], v[108:109]
	v_mul_f64 v[46:47], v[78:79], v[112:113]
	v_mul_f64 v[48:49], v[82:83], v[110:111]
	v_mul_f64 v[50:51], v[78:79], v[114:115]
	v_fma_f64 v[44:45], v[80:81], v[110:111], -v[44:45]
	v_fma_f64 v[46:47], v[76:77], v[114:115], -v[46:47]
	v_fma_f64 v[48:49], v[80:81], v[108:109], v[48:49]
	v_fma_f64 v[50:51], v[76:77], v[112:113], v[50:51]
	v_add_f64 v[58:59], v[42:43], v[44:45]
	v_add_f64 v[52:53], v[44:45], v[46:47]
	v_add_f64 v[44:45], v[44:45], -v[46:47]
	v_add_f64 v[54:55], v[48:49], v[50:51]
	v_add_f64 v[56:57], v[48:49], -v[50:51]
	v_add_f64 v[48:49], v[40:41], v[48:49]
	v_fma_f64 v[52:53], v[52:53], -0.5, v[42:43]
	v_add_f64 v[42:43], v[58:59], v[46:47]
	v_fma_f64 v[54:55], v[54:55], -0.5, v[40:41]
	v_add_f64 v[40:41], v[48:49], v[50:51]
	v_fma_f64 v[50:51], v[56:57], s[2:3], v[52:53]
	v_fma_f64 v[46:47], v[56:57], s[0:1], v[52:53]
	;; [unrolled: 1-line block ×4, first 2 shown]
	ds_write_b128 v160, v[40:43] offset:1440
	ds_write_b128 v120, v[48:51] offset:3040
	;; [unrolled: 1-line block ×3, first 2 shown]
.LBB0_9:
	s_or_b32 exec_lo, exec_lo, s6
	s_waitcnt lgkmcnt(0)
	s_barrier
	buffer_gl0_inv
	ds_read_b128 v[40:43], v160
	ds_read_b128 v[44:47], v160 offset:480
	ds_read_b128 v[48:51], v160 offset:960
	;; [unrolled: 1-line block ×3, first 2 shown]
	v_mad_u64_u32 v[80:81], null, s10, v156, 0
	v_mad_u64_u32 v[82:83], null, s8, v159, 0
	ds_read_b128 v[56:59], v160 offset:1920
	ds_read_b128 v[60:63], v160 offset:2400
	;; [unrolled: 1-line block ×6, first 2 shown]
	s_mov_b32 s0, 0xb4e81b4f
	s_mov_b32 s1, 0x3f6b4e81
	s_mul_i32 s3, s9, 0x1e0
	s_mul_hi_u32 s6, s8, 0x1e0
	s_mul_i32 s2, s8, 0x1e0
	v_mad_u64_u32 v[88:89], null, s11, v156, v[81:82]
	s_add_i32 s6, s6, s3
	s_waitcnt lgkmcnt(9)
	v_mul_f64 v[84:85], v[2:3], v[42:43]
	v_mul_f64 v[2:3], v[2:3], v[40:41]
	s_waitcnt lgkmcnt(8)
	v_mul_f64 v[86:87], v[6:7], v[46:47]
	v_mul_f64 v[6:7], v[6:7], v[44:45]
	s_waitcnt lgkmcnt(6)
	v_mul_f64 v[92:93], v[14:15], v[54:55]
	v_mul_f64 v[14:15], v[14:15], v[52:53]
	v_mov_b32_e32 v81, v88
	s_waitcnt lgkmcnt(0)
	v_mul_f64 v[94:95], v[38:39], v[78:79]
	v_mul_f64 v[38:39], v[38:39], v[76:77]
	v_lshlrev_b64 v[80:81], 4, v[80:81]
	v_fma_f64 v[40:41], v[0:1], v[40:41], v[84:85]
	v_fma_f64 v[2:3], v[0:1], v[42:43], -v[2:3]
	v_fma_f64 v[42:43], v[4:5], v[44:45], v[86:87]
	v_fma_f64 v[6:7], v[4:5], v[46:47], -v[6:7]
	v_mad_u64_u32 v[89:90], null, s9, v159, v[83:84]
	v_mul_f64 v[90:91], v[10:11], v[50:51]
	v_mul_f64 v[10:11], v[10:11], v[48:49]
	;; [unrolled: 1-line block ×6, first 2 shown]
	v_mov_b32_e32 v83, v89
	v_mul_f64 v[84:85], v[22:23], v[66:67]
	v_mul_f64 v[22:23], v[22:23], v[64:65]
	v_mul_f64 v[86:87], v[34:35], v[70:71]
	v_mul_f64 v[34:35], v[34:35], v[68:69]
	v_mul_f64 v[88:89], v[30:31], v[74:75]
	v_mul_f64 v[30:31], v[30:31], v[72:73]
	v_lshlrev_b64 v[82:83], 4, v[82:83]
	v_mul_f64 v[0:1], v[40:41], s[0:1]
	v_mul_f64 v[2:3], v[2:3], s[0:1]
	;; [unrolled: 1-line block ×4, first 2 shown]
	v_fma_f64 v[40:41], v[12:13], v[52:53], v[92:93]
	v_fma_f64 v[12:13], v[12:13], v[54:55], -v[14:15]
	v_fma_f64 v[48:49], v[8:9], v[48:49], v[90:91]
	v_fma_f64 v[10:11], v[8:9], v[50:51], -v[10:11]
	v_add_co_u32 v8, vcc_lo, s4, v80
	v_add_co_ci_u32_e32 v9, vcc_lo, s5, v81, vcc_lo
	v_fma_f64 v[44:45], v[16:17], v[56:57], v[44:45]
	v_add_co_u32 v14, vcc_lo, v8, v82
	v_add_co_ci_u32_e32 v15, vcc_lo, v9, v83, vcc_lo
	v_fma_f64 v[16:17], v[16:17], v[58:59], -v[18:19]
	v_add_co_u32 v42, vcc_lo, v14, s2
	v_add_co_ci_u32_e32 v43, vcc_lo, s6, v15, vcc_lo
	global_store_dwordx4 v[14:15], v[0:3], off
	global_store_dwordx4 v[42:43], v[4:7], off
	v_fma_f64 v[14:15], v[24:25], v[60:61], v[46:47]
	v_fma_f64 v[18:19], v[24:25], v[62:63], -v[26:27]
	v_fma_f64 v[24:25], v[20:21], v[64:65], v[84:85]
	v_fma_f64 v[20:21], v[20:21], v[66:67], -v[22:23]
	v_fma_f64 v[22:23], v[32:33], v[68:69], v[86:87]
	v_fma_f64 v[26:27], v[32:33], v[70:71], -v[34:35]
	v_fma_f64 v[32:33], v[28:29], v[72:73], v[88:89]
	v_fma_f64 v[28:29], v[28:29], v[74:75], -v[30:31]
	v_fma_f64 v[30:31], v[36:37], v[76:77], v[94:95]
	v_fma_f64 v[34:35], v[36:37], v[78:79], -v[38:39]
	v_add_co_u32 v50, vcc_lo, v42, s2
	v_add_co_ci_u32_e32 v51, vcc_lo, s6, v43, vcc_lo
	v_mul_f64 v[8:9], v[48:49], s[0:1]
	v_mul_f64 v[10:11], v[10:11], s[0:1]
	v_add_co_u32 v36, vcc_lo, v50, s2
	v_add_co_ci_u32_e32 v37, vcc_lo, s6, v51, vcc_lo
	v_mul_f64 v[0:1], v[40:41], s[0:1]
	v_mul_f64 v[2:3], v[12:13], s[0:1]
	v_add_co_u32 v38, vcc_lo, v36, s2
	v_add_co_ci_u32_e32 v39, vcc_lo, s6, v37, vcc_lo
	v_mul_f64 v[4:5], v[44:45], s[0:1]
	v_add_co_u32 v40, vcc_lo, v38, s2
	v_mul_f64 v[6:7], v[16:17], s[0:1]
	v_mul_f64 v[12:13], v[14:15], s[0:1]
	;; [unrolled: 1-line block ×3, first 2 shown]
	v_add_co_ci_u32_e32 v41, vcc_lo, s6, v39, vcc_lo
	v_mul_f64 v[16:17], v[24:25], s[0:1]
	v_mul_f64 v[18:19], v[20:21], s[0:1]
	;; [unrolled: 1-line block ×8, first 2 shown]
	v_add_co_u32 v32, vcc_lo, v40, s2
	v_add_co_ci_u32_e32 v33, vcc_lo, s6, v41, vcc_lo
	global_store_dwordx4 v[50:51], v[8:11], off
	v_add_co_u32 v8, vcc_lo, v32, s2
	v_add_co_ci_u32_e32 v9, vcc_lo, s6, v33, vcc_lo
	global_store_dwordx4 v[36:37], v[0:3], off
	;; [unrolled: 3-line block ×4, first 2 shown]
	global_store_dwordx4 v[32:33], v[16:19], off
	global_store_dwordx4 v[8:9], v[20:23], off
	;; [unrolled: 1-line block ×4, first 2 shown]
.LBB0_10:
	s_endpgm
	.section	.rodata,"a",@progbits
	.p2align	6, 0x0
	.amdhsa_kernel bluestein_single_fwd_len300_dim1_dp_op_CI_CI
		.amdhsa_group_segment_fixed_size 9600
		.amdhsa_private_segment_fixed_size 0
		.amdhsa_kernarg_size 104
		.amdhsa_user_sgpr_count 6
		.amdhsa_user_sgpr_private_segment_buffer 1
		.amdhsa_user_sgpr_dispatch_ptr 0
		.amdhsa_user_sgpr_queue_ptr 0
		.amdhsa_user_sgpr_kernarg_segment_ptr 1
		.amdhsa_user_sgpr_dispatch_id 0
		.amdhsa_user_sgpr_flat_scratch_init 0
		.amdhsa_user_sgpr_private_segment_size 0
		.amdhsa_wavefront_size32 1
		.amdhsa_uses_dynamic_stack 0
		.amdhsa_system_sgpr_private_segment_wavefront_offset 0
		.amdhsa_system_sgpr_workgroup_id_x 1
		.amdhsa_system_sgpr_workgroup_id_y 0
		.amdhsa_system_sgpr_workgroup_id_z 0
		.amdhsa_system_sgpr_workgroup_info 0
		.amdhsa_system_vgpr_workitem_id 0
		.amdhsa_next_free_vgpr 231
		.amdhsa_next_free_sgpr 22
		.amdhsa_reserve_vcc 1
		.amdhsa_reserve_flat_scratch 0
		.amdhsa_float_round_mode_32 0
		.amdhsa_float_round_mode_16_64 0
		.amdhsa_float_denorm_mode_32 3
		.amdhsa_float_denorm_mode_16_64 3
		.amdhsa_dx10_clamp 1
		.amdhsa_ieee_mode 1
		.amdhsa_fp16_overflow 0
		.amdhsa_workgroup_processor_mode 1
		.amdhsa_memory_ordered 1
		.amdhsa_forward_progress 0
		.amdhsa_shared_vgpr_count 0
		.amdhsa_exception_fp_ieee_invalid_op 0
		.amdhsa_exception_fp_denorm_src 0
		.amdhsa_exception_fp_ieee_div_zero 0
		.amdhsa_exception_fp_ieee_overflow 0
		.amdhsa_exception_fp_ieee_underflow 0
		.amdhsa_exception_fp_ieee_inexact 0
		.amdhsa_exception_int_div_zero 0
	.end_amdhsa_kernel
	.text
.Lfunc_end0:
	.size	bluestein_single_fwd_len300_dim1_dp_op_CI_CI, .Lfunc_end0-bluestein_single_fwd_len300_dim1_dp_op_CI_CI
                                        ; -- End function
	.section	.AMDGPU.csdata,"",@progbits
; Kernel info:
; codeLenInByte = 11300
; NumSgprs: 24
; NumVgprs: 231
; ScratchSize: 0
; MemoryBound: 0
; FloatMode: 240
; IeeeMode: 1
; LDSByteSize: 9600 bytes/workgroup (compile time only)
; SGPRBlocks: 2
; VGPRBlocks: 28
; NumSGPRsForWavesPerEU: 24
; NumVGPRsForWavesPerEU: 231
; Occupancy: 4
; WaveLimiterHint : 1
; COMPUTE_PGM_RSRC2:SCRATCH_EN: 0
; COMPUTE_PGM_RSRC2:USER_SGPR: 6
; COMPUTE_PGM_RSRC2:TRAP_HANDLER: 0
; COMPUTE_PGM_RSRC2:TGID_X_EN: 1
; COMPUTE_PGM_RSRC2:TGID_Y_EN: 0
; COMPUTE_PGM_RSRC2:TGID_Z_EN: 0
; COMPUTE_PGM_RSRC2:TIDIG_COMP_CNT: 0
	.text
	.p2alignl 6, 3214868480
	.fill 48, 4, 3214868480
	.type	__hip_cuid_820a4fff6f8db871,@object ; @__hip_cuid_820a4fff6f8db871
	.section	.bss,"aw",@nobits
	.globl	__hip_cuid_820a4fff6f8db871
__hip_cuid_820a4fff6f8db871:
	.byte	0                               ; 0x0
	.size	__hip_cuid_820a4fff6f8db871, 1

	.ident	"AMD clang version 19.0.0git (https://github.com/RadeonOpenCompute/llvm-project roc-6.4.0 25133 c7fe45cf4b819c5991fe208aaa96edf142730f1d)"
	.section	".note.GNU-stack","",@progbits
	.addrsig
	.addrsig_sym __hip_cuid_820a4fff6f8db871
	.amdgpu_metadata
---
amdhsa.kernels:
  - .args:
      - .actual_access:  read_only
        .address_space:  global
        .offset:         0
        .size:           8
        .value_kind:     global_buffer
      - .actual_access:  read_only
        .address_space:  global
        .offset:         8
        .size:           8
        .value_kind:     global_buffer
      - .actual_access:  read_only
        .address_space:  global
        .offset:         16
        .size:           8
        .value_kind:     global_buffer
      - .actual_access:  read_only
        .address_space:  global
        .offset:         24
        .size:           8
        .value_kind:     global_buffer
      - .actual_access:  read_only
        .address_space:  global
        .offset:         32
        .size:           8
        .value_kind:     global_buffer
      - .offset:         40
        .size:           8
        .value_kind:     by_value
      - .address_space:  global
        .offset:         48
        .size:           8
        .value_kind:     global_buffer
      - .address_space:  global
        .offset:         56
        .size:           8
        .value_kind:     global_buffer
      - .address_space:  global
        .offset:         64
        .size:           8
        .value_kind:     global_buffer
      - .address_space:  global
        .offset:         72
        .size:           8
        .value_kind:     global_buffer
      - .offset:         80
        .size:           4
        .value_kind:     by_value
      - .address_space:  global
        .offset:         88
        .size:           8
        .value_kind:     global_buffer
      - .address_space:  global
        .offset:         96
        .size:           8
        .value_kind:     global_buffer
    .group_segment_fixed_size: 9600
    .kernarg_segment_align: 8
    .kernarg_segment_size: 104
    .language:       OpenCL C
    .language_version:
      - 2
      - 0
    .max_flat_workgroup_size: 60
    .name:           bluestein_single_fwd_len300_dim1_dp_op_CI_CI
    .private_segment_fixed_size: 0
    .sgpr_count:     24
    .sgpr_spill_count: 0
    .symbol:         bluestein_single_fwd_len300_dim1_dp_op_CI_CI.kd
    .uniform_work_group_size: 1
    .uses_dynamic_stack: false
    .vgpr_count:     231
    .vgpr_spill_count: 0
    .wavefront_size: 32
    .workgroup_processor_mode: 1
amdhsa.target:   amdgcn-amd-amdhsa--gfx1030
amdhsa.version:
  - 1
  - 2
...

	.end_amdgpu_metadata
